;; amdgpu-corpus repo=zjin-lcf/HeCBench kind=compiled arch=gfx1100 opt=O3
	.text
	.amdgcn_target "amdgcn-amd-amdhsa--gfx1100"
	.amdhsa_code_object_version 6
	.protected	_Z11fasten_mainmmmmPK4AtomS1_PKfS3_S3_S3_S3_S3_PK8FFParamsPf ; -- Begin function _Z11fasten_mainmmmmPK4AtomS1_PKfS3_S3_S3_S3_S3_PK8FFParamsPf
	.globl	_Z11fasten_mainmmmmPK4AtomS1_PKfS3_S3_S3_S3_S3_PK8FFParamsPf
	.p2align	8
	.type	_Z11fasten_mainmmmmPK4AtomS1_PKfS3_S3_S3_S3_S3_PK8FFParamsPf,@function
_Z11fasten_mainmmmmPK4AtomS1_PKfS3_S3_S3_S3_S3_PK8FFParamsPf: ; @_Z11fasten_mainmmmmPK4AtomS1_PKfS3_S3_S3_S3_S3_PK8FFParamsPf
; %bb.0:
	s_clause 0x4
	s_load_b256 s[4:11], s[0:1], 0x0
	s_load_b256 s[24:31], s[0:1], 0x40
	;; [unrolled: 1-line block ×3, first 2 shown]
	s_load_b64 s[12:13], s[0:1], 0x68
	s_load_b32 s2, s[0:1], 0x7c
	v_mov_b32_e32 v1, 0
	s_mov_b32 s3, exec_lo
	s_waitcnt lgkmcnt(0)
	s_delay_alu instid0(VALU_DEP_1)
	v_cmpx_gt_u64_e64 s[4:5], v[0:1]
	s_cbranch_execz .LBB0_3
; %bb.1:
	s_load_b64 s[0:1], s[0:1], 0x60
	s_and_b32 s14, 0xffff, s2
	v_mov_b32_e32 v4, v1
	v_dual_mov_b32 v3, v0 :: v_dual_add_nc_u32 v2, s14, v0
	v_lshl_add_u32 v5, v0, 4, 0
	s_mov_b32 s33, 0
	s_lshl_b32 s34, s14, 4
	.p2align	6
.LBB0_2:                                ; =>This Inner Loop Header: Depth=1
	s_delay_alu instid0(VALU_DEP_1) | instskip(SKIP_1) | instid1(VALU_DEP_1)
	v_lshlrev_b64 v[3:4], 4, v[3:4]
	s_waitcnt lgkmcnt(0)
	v_add_co_u32 v3, vcc_lo, s0, v3
	s_delay_alu instid0(VALU_DEP_2) | instskip(SKIP_2) | instid1(VALU_DEP_1)
	v_add_co_ci_u32_e32 v4, vcc_lo, s1, v4, vcc_lo
	global_load_b128 v[6:9], v[3:4], off
	v_ashrrev_i32_e32 v3, 31, v2
	v_cmp_le_u64_e32 vcc_lo, s[4:5], v[2:3]
	v_mov_b32_e32 v4, v3
	s_or_b32 s33, vcc_lo, s33
	s_waitcnt vmcnt(0)
	ds_store_2addr_b64 v5, v[6:7], v[8:9] offset1:1
	v_add_nc_u32_e32 v5, s34, v5
	v_dual_mov_b32 v3, v2 :: v_dual_add_nc_u32 v2, s14, v2
	s_and_not1_b32 exec_lo, exec_lo, s33
	s_cbranch_execnz .LBB0_2
.LBB0_3:
	s_or_b32 exec_lo, exec_lo, s3
	s_and_b32 s0, 0xffff, s2
	s_add_u32 s1, s6, -1
	v_mad_u64_u32 v[4:5], null, s0, s15, v[0:1]
	s_addc_u32 s2, s7, -1
                                        ; implicit-def: $vgpr7
                                        ; implicit-def: $vgpr6
	s_delay_alu instid0(VALU_DEP_1) | instskip(NEXT) | instid1(VALU_DEP_1)
	v_cmp_gt_u64_e64 s0, s[6:7], v[4:5]
	v_cndmask_b32_e64 v1, s2, v5, s0
	v_cndmask_b32_e64 v0, s1, v4, s0
	s_delay_alu instid0(VALU_DEP_1) | instskip(NEXT) | instid1(VALU_DEP_1)
	v_lshlrev_b64 v[0:1], 2, v[0:1]
	v_add_co_u32 v2, vcc_lo, s20, v0
	s_delay_alu instid0(VALU_DEP_2) | instskip(SKIP_4) | instid1(VALU_DEP_2)
	v_add_co_ci_u32_e32 v3, vcc_lo, s21, v1, vcc_lo
	global_load_b32 v2, v[2:3], off
	s_waitcnt vmcnt(0)
	v_and_b32_e32 v3, 0x7fffffff, v2
	v_cmp_ngt_f32_e64 s4, 0x48000000, |v2|
	v_lshrrev_b32_e32 v10, 23, v3
	s_delay_alu instid0(VALU_DEP_2) | instskip(NEXT) | instid1(SALU_CYCLE_1)
	s_and_saveexec_b32 s1, s4
	s_xor_b32 s5, exec_lo, s1
	s_cbranch_execz .LBB0_5
; %bb.4:
	s_mov_b32 s1, 0x7fffff
	v_mov_b32_e32 v8, 0
	v_and_or_b32 v9, v3, s1, 0x800000
	v_add_nc_u32_e32 v16, 0xffffff88, v10
	s_delay_alu instid0(VALU_DEP_2) | instskip(NEXT) | instid1(VALU_DEP_2)
	v_mad_u64_u32 v[6:7], null, 0xfe5163ab, v9, 0
	v_cmp_lt_u32_e32 vcc_lo, 63, v16
	v_cndmask_b32_e64 v17, 0, 0xffffffc0, vcc_lo
	s_delay_alu instid0(VALU_DEP_3) | instskip(NEXT) | instid1(VALU_DEP_1)
	v_mad_u64_u32 v[11:12], null, 0x3c439041, v9, v[7:8]
	v_mov_b32_e32 v7, v12
	s_delay_alu instid0(VALU_DEP_1) | instskip(NEXT) | instid1(VALU_DEP_1)
	v_mad_u64_u32 v[12:13], null, 0xdb629599, v9, v[7:8]
	v_dual_cndmask_b32 v6, v12, v6 :: v_dual_add_nc_u32 v17, v17, v16
	s_delay_alu instid0(VALU_DEP_2) | instskip(NEXT) | instid1(VALU_DEP_2)
	v_mov_b32_e32 v7, v13
	v_cmp_lt_u32_e64 s1, 31, v17
	s_delay_alu instid0(VALU_DEP_2) | instskip(NEXT) | instid1(VALU_DEP_2)
	v_mad_u64_u32 v[13:14], null, 0xf534ddc0, v9, v[7:8]
	v_cndmask_b32_e64 v18, 0, 0xffffffe0, s1
	s_delay_alu instid0(VALU_DEP_1) | instskip(NEXT) | instid1(VALU_DEP_3)
	v_add_nc_u32_e32 v18, v18, v17
	v_mov_b32_e32 v7, v14
	s_delay_alu instid0(VALU_DEP_4) | instskip(NEXT) | instid1(VALU_DEP_3)
	v_cndmask_b32_e32 v11, v13, v11, vcc_lo
	v_cmp_lt_u32_e64 s2, 31, v18
	s_delay_alu instid0(VALU_DEP_3) | instskip(NEXT) | instid1(VALU_DEP_3)
	v_mad_u64_u32 v[14:15], null, 0xfc2757d1, v9, v[7:8]
	v_cndmask_b32_e64 v6, v11, v6, s1
	s_delay_alu instid0(VALU_DEP_2) | instskip(NEXT) | instid1(VALU_DEP_1)
	v_mov_b32_e32 v7, v15
	v_mad_u64_u32 v[15:16], null, 0x4e441529, v9, v[7:8]
	s_delay_alu instid0(VALU_DEP_1) | instskip(NEXT) | instid1(VALU_DEP_1)
	v_mov_b32_e32 v7, v16
	v_mad_u64_u32 v[16:17], null, 0xa2f9836e, v9, v[7:8]
	v_cndmask_b32_e64 v7, 0, 0xffffffe0, s2
	s_delay_alu instid0(VALU_DEP_4) | instskip(NEXT) | instid1(VALU_DEP_2)
	v_cndmask_b32_e32 v8, v15, v13, vcc_lo
	v_add_nc_u32_e32 v7, v7, v18
	s_delay_alu instid0(VALU_DEP_4) | instskip(SKIP_1) | instid1(VALU_DEP_3)
	v_cndmask_b32_e32 v9, v16, v14, vcc_lo
	v_dual_cndmask_b32 v15, v17, v15 :: v_dual_cndmask_b32 v14, v14, v12
	v_cmp_eq_u32_e64 s3, 0, v7
	s_delay_alu instid0(VALU_DEP_3) | instskip(NEXT) | instid1(VALU_DEP_3)
	v_cndmask_b32_e64 v13, v9, v8, s1
	v_cndmask_b32_e64 v9, v15, v9, s1
	s_delay_alu instid0(VALU_DEP_4) | instskip(SKIP_2) | instid1(VALU_DEP_4)
	v_cndmask_b32_e64 v8, v8, v14, s1
	v_sub_nc_u32_e32 v15, 32, v7
	v_cndmask_b32_e64 v14, v14, v11, s1
	v_cndmask_b32_e64 v9, v9, v13, s2
	s_delay_alu instid0(VALU_DEP_4) | instskip(NEXT) | instid1(VALU_DEP_3)
	v_cndmask_b32_e64 v13, v13, v8, s2
	v_cndmask_b32_e64 v8, v8, v14, s2
	v_cndmask_b32_e64 v6, v14, v6, s2
	s_delay_alu instid0(VALU_DEP_3) | instskip(NEXT) | instid1(VALU_DEP_3)
	v_alignbit_b32 v16, v9, v13, v15
	v_alignbit_b32 v17, v13, v8, v15
	s_delay_alu instid0(VALU_DEP_3) | instskip(NEXT) | instid1(VALU_DEP_3)
	v_alignbit_b32 v15, v8, v6, v15
	v_cndmask_b32_e64 v7, v16, v9, s3
	s_delay_alu instid0(VALU_DEP_3) | instskip(NEXT) | instid1(VALU_DEP_3)
	v_cndmask_b32_e64 v9, v17, v13, s3
	v_cndmask_b32_e64 v8, v15, v8, s3
	s_delay_alu instid0(VALU_DEP_3) | instskip(NEXT) | instid1(VALU_DEP_3)
	v_bfe_u32 v12, v7, 29, 1
	v_alignbit_b32 v11, v7, v9, 30
	s_delay_alu instid0(VALU_DEP_3) | instskip(SKIP_1) | instid1(VALU_DEP_4)
	v_alignbit_b32 v9, v9, v8, 30
	v_alignbit_b32 v6, v8, v6, 30
	v_sub_nc_u32_e32 v13, 0, v12
	s_delay_alu instid0(VALU_DEP_1) | instskip(SKIP_3) | instid1(VALU_DEP_4)
	v_xor_b32_e32 v14, v11, v13
	v_cmp_ne_u32_e32 vcc_lo, v11, v13
	v_xor_b32_e32 v8, v9, v13
	v_xor_b32_e32 v6, v6, v13
	v_clz_i32_u32_e32 v16, v14
	s_delay_alu instid0(VALU_DEP_1) | instskip(NEXT) | instid1(VALU_DEP_1)
	v_add_nc_u32_e32 v15, 1, v16
	v_cndmask_b32_e32 v11, 33, v15, vcc_lo
	s_delay_alu instid0(VALU_DEP_1) | instskip(NEXT) | instid1(VALU_DEP_1)
	v_sub_nc_u32_e32 v9, 32, v11
	v_alignbit_b32 v13, v14, v8, v9
	v_alignbit_b32 v6, v8, v6, v9
	v_lshrrev_b32_e32 v8, 29, v7
	v_lshrrev_b32_e32 v7, 30, v7
	s_delay_alu instid0(VALU_DEP_3) | instskip(NEXT) | instid1(VALU_DEP_3)
	v_alignbit_b32 v9, v13, v6, 9
	v_lshlrev_b32_e32 v8, 31, v8
	v_alignbit_b32 v13, v11, v13, 9
	s_delay_alu instid0(VALU_DEP_4) | instskip(NEXT) | instid1(VALU_DEP_4)
	v_add_nc_u32_e32 v7, v12, v7
	v_clz_i32_u32_e32 v14, v9
	s_delay_alu instid0(VALU_DEP_3) | instskip(SKIP_1) | instid1(VALU_DEP_3)
	v_or_b32_e32 v13, v13, v8
	v_or_b32_e32 v8, 0x33800000, v8
	v_min_u32_e32 v14, 32, v14
	s_delay_alu instid0(VALU_DEP_3) | instskip(NEXT) | instid1(VALU_DEP_2)
	v_xor_b32_e32 v13, 1.0, v13
	v_sub_nc_u32_e32 v15, 31, v14
	v_add_lshl_u32 v11, v14, v11, 23
	s_delay_alu instid0(VALU_DEP_3) | instskip(NEXT) | instid1(VALU_DEP_3)
	v_mul_f32_e32 v14, 0x3fc90fda, v13
	v_alignbit_b32 v6, v9, v6, v15
	s_delay_alu instid0(VALU_DEP_3) | instskip(NEXT) | instid1(VALU_DEP_3)
	v_sub_nc_u32_e32 v8, v8, v11
	v_fma_f32 v9, 0x3fc90fda, v13, -v14
	s_delay_alu instid0(VALU_DEP_3) | instskip(NEXT) | instid1(VALU_DEP_2)
	v_lshrrev_b32_e32 v6, 9, v6
	v_fmamk_f32 v9, v13, 0x33a22168, v9
	s_delay_alu instid0(VALU_DEP_2) | instskip(NEXT) | instid1(VALU_DEP_1)
	v_or_b32_e32 v6, v8, v6
	v_fmac_f32_e32 v9, 0x3fc90fda, v6
	s_delay_alu instid0(VALU_DEP_1)
	v_add_f32_e32 v6, v14, v9
	s_or_saveexec_b32 s1, s5
	v_mul_f32_e64 v11, 0x3f22f983, |v2|
	s_xor_b32 exec_lo, exec_lo, s1
	s_branch .LBB0_6
.LBB0_5:
	s_or_saveexec_b32 s1, s5
	v_mul_f32_e64 v11, 0x3f22f983, |v2|
	s_xor_b32 exec_lo, exec_lo, s1
.LBB0_6:
	s_delay_alu instid0(VALU_DEP_1) | instskip(NEXT) | instid1(VALU_DEP_1)
	v_rndne_f32_e32 v7, v11
	v_fma_f32 v6, 0xbfc90fda, v7, |v2|
	s_delay_alu instid0(VALU_DEP_1) | instskip(NEXT) | instid1(VALU_DEP_1)
	v_fmamk_f32 v6, v7, 0xb3a22168, v6
	v_fmamk_f32 v6, v7, 0xa7c234c4, v6
	v_cvt_i32_f32_e32 v7, v7
; %bb.7:
	s_or_b32 exec_lo, exec_lo, s1
                                        ; implicit-def: $vgpr8
                                        ; implicit-def: $vgpr9
	s_and_saveexec_b32 s1, s4
	s_delay_alu instid0(SALU_CYCLE_1)
	s_xor_b32 s4, exec_lo, s1
	s_cbranch_execz .LBB0_9
; %bb.8:
	s_mov_b32 s1, 0x7fffff
	s_delay_alu instid0(SALU_CYCLE_1) | instskip(NEXT) | instid1(VALU_DEP_1)
	v_and_or_b32 v19, v3, s1, 0x800000
	v_mad_u64_u32 v[8:9], null, 0xfe5163ab, v19, 0
	s_delay_alu instid0(VALU_DEP_1) | instskip(NEXT) | instid1(VALU_DEP_1)
	v_dual_mov_b32 v12, 0 :: v_dual_mov_b32 v11, v9
	v_mad_u64_u32 v[13:14], null, 0x3c439041, v19, v[11:12]
	s_delay_alu instid0(VALU_DEP_1) | instskip(NEXT) | instid1(VALU_DEP_1)
	v_mov_b32_e32 v11, v14
	v_mad_u64_u32 v[14:15], null, 0xdb629599, v19, v[11:12]
	s_delay_alu instid0(VALU_DEP_1) | instskip(NEXT) | instid1(VALU_DEP_1)
	v_mov_b32_e32 v11, v15
	v_mad_u64_u32 v[15:16], null, 0xf534ddc0, v19, v[11:12]
	s_delay_alu instid0(VALU_DEP_1) | instskip(NEXT) | instid1(VALU_DEP_1)
	v_dual_mov_b32 v11, v16 :: v_dual_add_nc_u32 v16, 0xffffff88, v10
	v_mad_u64_u32 v[9:10], null, 0xfc2757d1, v19, v[11:12]
	s_delay_alu instid0(VALU_DEP_2) | instskip(SKIP_1) | instid1(VALU_DEP_3)
	v_cmp_lt_u32_e32 vcc_lo, 63, v16
	v_cndmask_b32_e64 v17, 0, 0xffffffc0, vcc_lo
	v_mov_b32_e32 v11, v10
	v_cndmask_b32_e32 v8, v14, v8, vcc_lo
	s_delay_alu instid0(VALU_DEP_3) | instskip(NEXT) | instid1(VALU_DEP_3)
	v_add_nc_u32_e32 v10, v17, v16
	v_mad_u64_u32 v[16:17], null, 0x4e441529, v19, v[11:12]
	s_delay_alu instid0(VALU_DEP_2) | instskip(NEXT) | instid1(VALU_DEP_2)
	v_cmp_lt_u32_e64 s1, 31, v10
	v_mov_b32_e32 v11, v17
	s_delay_alu instid0(VALU_DEP_2) | instskip(NEXT) | instid1(VALU_DEP_1)
	v_cndmask_b32_e64 v18, 0, 0xffffffe0, s1
	v_add_nc_u32_e32 v10, v18, v10
	s_delay_alu instid0(VALU_DEP_3) | instskip(SKIP_1) | instid1(VALU_DEP_3)
	v_mad_u64_u32 v[17:18], null, 0xa2f9836e, v19, v[11:12]
	v_cndmask_b32_e32 v12, v16, v15, vcc_lo
	v_cmp_lt_u32_e64 s2, 31, v10
	s_delay_alu instid0(VALU_DEP_3) | instskip(NEXT) | instid1(VALU_DEP_2)
	v_cndmask_b32_e32 v16, v18, v16, vcc_lo
	v_cndmask_b32_e64 v11, 0, 0xffffffe0, s2
	v_cndmask_b32_e32 v17, v17, v9, vcc_lo
	v_cndmask_b32_e32 v9, v9, v14, vcc_lo
	s_delay_alu instid0(VALU_DEP_3) | instskip(SKIP_1) | instid1(VALU_DEP_4)
	v_add_nc_u32_e32 v10, v11, v10
	v_cndmask_b32_e32 v11, v15, v13, vcc_lo
	v_cndmask_b32_e64 v13, v17, v12, s1
	v_cndmask_b32_e64 v15, v16, v17, s1
	;; [unrolled: 1-line block ×3, first 2 shown]
	v_sub_nc_u32_e32 v16, 32, v10
	v_cndmask_b32_e64 v9, v9, v11, s1
	v_cmp_eq_u32_e64 s3, 0, v10
	v_cndmask_b32_e64 v15, v15, v13, s2
	v_cndmask_b32_e64 v13, v13, v12, s2
	;; [unrolled: 1-line block ×4, first 2 shown]
	s_delay_alu instid0(VALU_DEP_3) | instskip(NEXT) | instid1(VALU_DEP_3)
	v_alignbit_b32 v17, v15, v13, v16
	v_cndmask_b32_e64 v8, v9, v8, s2
	s_delay_alu instid0(VALU_DEP_3) | instskip(NEXT) | instid1(VALU_DEP_3)
	v_alignbit_b32 v18, v13, v12, v16
	v_cndmask_b32_e64 v10, v17, v15, s3
	;; [unrolled: 3-line block ×3, first 2 shown]
	s_delay_alu instid0(VALU_DEP_3) | instskip(NEXT) | instid1(VALU_DEP_3)
	v_bfe_u32 v14, v10, 29, 1
	v_cndmask_b32_e64 v12, v16, v12, s3
	s_delay_alu instid0(VALU_DEP_3) | instskip(NEXT) | instid1(VALU_DEP_3)
	v_alignbit_b32 v11, v10, v13, 30
	v_sub_nc_u32_e32 v15, 0, v14
	s_delay_alu instid0(VALU_DEP_3) | instskip(SKIP_1) | instid1(VALU_DEP_3)
	v_alignbit_b32 v13, v13, v12, 30
	v_alignbit_b32 v8, v12, v8, 30
	v_xor_b32_e32 v9, v11, v15
	v_cmp_ne_u32_e32 vcc_lo, v11, v15
	s_delay_alu instid0(VALU_DEP_4) | instskip(NEXT) | instid1(VALU_DEP_4)
	v_xor_b32_e32 v12, v13, v15
	v_xor_b32_e32 v8, v8, v15
	s_delay_alu instid0(VALU_DEP_4) | instskip(NEXT) | instid1(VALU_DEP_1)
	v_clz_i32_u32_e32 v17, v9
	v_add_nc_u32_e32 v16, 1, v17
	s_delay_alu instid0(VALU_DEP_1) | instskip(NEXT) | instid1(VALU_DEP_1)
	v_cndmask_b32_e32 v11, 33, v16, vcc_lo
	v_sub_nc_u32_e32 v13, 32, v11
	s_delay_alu instid0(VALU_DEP_1) | instskip(SKIP_2) | instid1(VALU_DEP_2)
	v_alignbit_b32 v9, v9, v12, v13
	v_alignbit_b32 v8, v12, v8, v13
	v_lshrrev_b32_e32 v12, 29, v10
	v_alignbit_b32 v13, v9, v8, 9
	s_delay_alu instid0(VALU_DEP_2) | instskip(SKIP_1) | instid1(VALU_DEP_3)
	v_lshlrev_b32_e32 v12, 31, v12
	v_alignbit_b32 v9, v11, v9, 9
	v_clz_i32_u32_e32 v15, v13
	s_delay_alu instid0(VALU_DEP_2) | instskip(SKIP_1) | instid1(VALU_DEP_3)
	v_or_b32_e32 v9, v9, v12
	v_or_b32_e32 v12, 0x33800000, v12
	v_min_u32_e32 v15, 32, v15
	s_delay_alu instid0(VALU_DEP_3) | instskip(NEXT) | instid1(VALU_DEP_2)
	v_xor_b32_e32 v9, 1.0, v9
	v_sub_nc_u32_e32 v16, 31, v15
	v_add_lshl_u32 v11, v15, v11, 23
	s_delay_alu instid0(VALU_DEP_3) | instskip(NEXT) | instid1(VALU_DEP_3)
	v_mul_f32_e32 v15, 0x3fc90fda, v9
	v_alignbit_b32 v8, v13, v8, v16
	s_delay_alu instid0(VALU_DEP_3) | instskip(NEXT) | instid1(VALU_DEP_3)
	v_sub_nc_u32_e32 v11, v12, v11
	v_fma_f32 v12, 0x3fc90fda, v9, -v15
	s_delay_alu instid0(VALU_DEP_3) | instskip(NEXT) | instid1(VALU_DEP_2)
	v_lshrrev_b32_e32 v8, 9, v8
	v_fmamk_f32 v9, v9, 0x33a22168, v12
	s_delay_alu instid0(VALU_DEP_2) | instskip(NEXT) | instid1(VALU_DEP_1)
	v_or_b32_e32 v8, v11, v8
                                        ; implicit-def: $vgpr11
	v_fmac_f32_e32 v9, 0x3fc90fda, v8
	v_lshrrev_b32_e32 v8, 30, v10
	s_delay_alu instid0(VALU_DEP_1)
	v_dual_add_f32 v9, v15, v9 :: v_dual_add_nc_u32 v8, v14, v8
	s_and_not1_saveexec_b32 s1, s4
	s_cbranch_execnz .LBB0_10
	s_branch .LBB0_11
.LBB0_9:
	s_and_not1_saveexec_b32 s1, s4
.LBB0_10:
	v_rndne_f32_e32 v8, v11
	s_delay_alu instid0(VALU_DEP_1) | instskip(NEXT) | instid1(VALU_DEP_1)
	v_fma_f32 v9, 0xbfc90fda, v8, |v2|
	v_fmamk_f32 v9, v8, 0xb3a22168, v9
	s_delay_alu instid0(VALU_DEP_1)
	v_fmamk_f32 v9, v8, 0xa7c234c4, v9
	v_cvt_i32_f32_e32 v8, v8
.LBB0_11:
	s_or_b32 exec_lo, exec_lo, s1
	v_add_co_u32 v10, vcc_lo, s22, v0
	v_add_co_ci_u32_e32 v11, vcc_lo, s23, v1, vcc_lo
                                        ; implicit-def: $vgpr13
                                        ; implicit-def: $vgpr12
	global_load_b32 v10, v[10:11], off
	s_waitcnt vmcnt(0)
	v_and_b32_e32 v11, 0x7fffffff, v10
	v_cmp_ngt_f32_e64 s4, 0x48000000, |v10|
	s_delay_alu instid0(VALU_DEP_2) | instskip(NEXT) | instid1(VALU_DEP_2)
	v_lshrrev_b32_e32 v16, 23, v11
	s_and_saveexec_b32 s1, s4
	s_delay_alu instid0(SALU_CYCLE_1)
	s_xor_b32 s5, exec_lo, s1
	s_cbranch_execz .LBB0_13
; %bb.12:
	s_mov_b32 s1, 0x7fffff
	v_mov_b32_e32 v14, 0
	v_and_or_b32 v15, v11, s1, 0x800000
	v_add_nc_u32_e32 v22, 0xffffff88, v16
	s_delay_alu instid0(VALU_DEP_2) | instskip(NEXT) | instid1(VALU_DEP_2)
	v_mad_u64_u32 v[12:13], null, 0xfe5163ab, v15, 0
	v_cmp_lt_u32_e32 vcc_lo, 63, v22
	v_cndmask_b32_e64 v23, 0, 0xffffffc0, vcc_lo
	s_delay_alu instid0(VALU_DEP_3) | instskip(NEXT) | instid1(VALU_DEP_1)
	v_mad_u64_u32 v[17:18], null, 0x3c439041, v15, v[13:14]
	v_mov_b32_e32 v13, v18
	s_delay_alu instid0(VALU_DEP_1) | instskip(NEXT) | instid1(VALU_DEP_1)
	v_mad_u64_u32 v[18:19], null, 0xdb629599, v15, v[13:14]
	v_dual_cndmask_b32 v12, v18, v12 :: v_dual_add_nc_u32 v23, v23, v22
	s_delay_alu instid0(VALU_DEP_2) | instskip(NEXT) | instid1(VALU_DEP_2)
	v_mov_b32_e32 v13, v19
	v_cmp_lt_u32_e64 s1, 31, v23
	s_delay_alu instid0(VALU_DEP_2) | instskip(NEXT) | instid1(VALU_DEP_2)
	v_mad_u64_u32 v[19:20], null, 0xf534ddc0, v15, v[13:14]
	v_cndmask_b32_e64 v24, 0, 0xffffffe0, s1
	s_delay_alu instid0(VALU_DEP_1) | instskip(NEXT) | instid1(VALU_DEP_3)
	v_add_nc_u32_e32 v24, v24, v23
	v_mov_b32_e32 v13, v20
	s_delay_alu instid0(VALU_DEP_4) | instskip(NEXT) | instid1(VALU_DEP_3)
	v_cndmask_b32_e32 v17, v19, v17, vcc_lo
	v_cmp_lt_u32_e64 s2, 31, v24
	s_delay_alu instid0(VALU_DEP_3) | instskip(NEXT) | instid1(VALU_DEP_3)
	v_mad_u64_u32 v[20:21], null, 0xfc2757d1, v15, v[13:14]
	v_cndmask_b32_e64 v12, v17, v12, s1
	s_delay_alu instid0(VALU_DEP_2) | instskip(NEXT) | instid1(VALU_DEP_1)
	v_mov_b32_e32 v13, v21
	v_mad_u64_u32 v[21:22], null, 0x4e441529, v15, v[13:14]
	s_delay_alu instid0(VALU_DEP_1) | instskip(NEXT) | instid1(VALU_DEP_1)
	v_mov_b32_e32 v13, v22
	v_mad_u64_u32 v[22:23], null, 0xa2f9836e, v15, v[13:14]
	v_cndmask_b32_e64 v13, 0, 0xffffffe0, s2
	s_delay_alu instid0(VALU_DEP_4) | instskip(NEXT) | instid1(VALU_DEP_2)
	v_cndmask_b32_e32 v14, v21, v19, vcc_lo
	v_add_nc_u32_e32 v13, v13, v24
	s_delay_alu instid0(VALU_DEP_4) | instskip(SKIP_1) | instid1(VALU_DEP_3)
	v_cndmask_b32_e32 v15, v22, v20, vcc_lo
	v_dual_cndmask_b32 v21, v23, v21 :: v_dual_cndmask_b32 v20, v20, v18
	v_cmp_eq_u32_e64 s3, 0, v13
	s_delay_alu instid0(VALU_DEP_3) | instskip(NEXT) | instid1(VALU_DEP_3)
	v_cndmask_b32_e64 v19, v15, v14, s1
	v_cndmask_b32_e64 v15, v21, v15, s1
	s_delay_alu instid0(VALU_DEP_4) | instskip(SKIP_2) | instid1(VALU_DEP_4)
	v_cndmask_b32_e64 v14, v14, v20, s1
	v_sub_nc_u32_e32 v21, 32, v13
	v_cndmask_b32_e64 v20, v20, v17, s1
	v_cndmask_b32_e64 v15, v15, v19, s2
	s_delay_alu instid0(VALU_DEP_4) | instskip(NEXT) | instid1(VALU_DEP_3)
	v_cndmask_b32_e64 v19, v19, v14, s2
	v_cndmask_b32_e64 v14, v14, v20, s2
	v_cndmask_b32_e64 v12, v20, v12, s2
	s_delay_alu instid0(VALU_DEP_3) | instskip(NEXT) | instid1(VALU_DEP_3)
	v_alignbit_b32 v22, v15, v19, v21
	v_alignbit_b32 v23, v19, v14, v21
	s_delay_alu instid0(VALU_DEP_3) | instskip(NEXT) | instid1(VALU_DEP_3)
	v_alignbit_b32 v21, v14, v12, v21
	v_cndmask_b32_e64 v13, v22, v15, s3
	s_delay_alu instid0(VALU_DEP_3) | instskip(NEXT) | instid1(VALU_DEP_3)
	v_cndmask_b32_e64 v15, v23, v19, s3
	v_cndmask_b32_e64 v14, v21, v14, s3
	s_delay_alu instid0(VALU_DEP_3) | instskip(NEXT) | instid1(VALU_DEP_3)
	v_bfe_u32 v18, v13, 29, 1
	v_alignbit_b32 v17, v13, v15, 30
	s_delay_alu instid0(VALU_DEP_3) | instskip(SKIP_1) | instid1(VALU_DEP_4)
	v_alignbit_b32 v15, v15, v14, 30
	v_alignbit_b32 v12, v14, v12, 30
	v_sub_nc_u32_e32 v19, 0, v18
	s_delay_alu instid0(VALU_DEP_1) | instskip(SKIP_3) | instid1(VALU_DEP_4)
	v_xor_b32_e32 v20, v17, v19
	v_cmp_ne_u32_e32 vcc_lo, v17, v19
	v_xor_b32_e32 v14, v15, v19
	v_xor_b32_e32 v12, v12, v19
	v_clz_i32_u32_e32 v22, v20
	s_delay_alu instid0(VALU_DEP_1) | instskip(NEXT) | instid1(VALU_DEP_1)
	v_add_nc_u32_e32 v21, 1, v22
	v_cndmask_b32_e32 v17, 33, v21, vcc_lo
	s_delay_alu instid0(VALU_DEP_1) | instskip(NEXT) | instid1(VALU_DEP_1)
	v_sub_nc_u32_e32 v15, 32, v17
	v_alignbit_b32 v19, v20, v14, v15
	v_alignbit_b32 v12, v14, v12, v15
	v_lshrrev_b32_e32 v14, 29, v13
	v_lshrrev_b32_e32 v13, 30, v13
	s_delay_alu instid0(VALU_DEP_3) | instskip(NEXT) | instid1(VALU_DEP_3)
	v_alignbit_b32 v15, v19, v12, 9
	v_lshlrev_b32_e32 v14, 31, v14
	v_alignbit_b32 v19, v17, v19, 9
	s_delay_alu instid0(VALU_DEP_4) | instskip(NEXT) | instid1(VALU_DEP_4)
	v_add_nc_u32_e32 v13, v18, v13
	v_clz_i32_u32_e32 v20, v15
	s_delay_alu instid0(VALU_DEP_3) | instskip(SKIP_1) | instid1(VALU_DEP_3)
	v_or_b32_e32 v19, v19, v14
	v_or_b32_e32 v14, 0x33800000, v14
	v_min_u32_e32 v20, 32, v20
	s_delay_alu instid0(VALU_DEP_3) | instskip(NEXT) | instid1(VALU_DEP_2)
	v_xor_b32_e32 v19, 1.0, v19
	v_sub_nc_u32_e32 v21, 31, v20
	v_add_lshl_u32 v17, v20, v17, 23
	s_delay_alu instid0(VALU_DEP_3) | instskip(NEXT) | instid1(VALU_DEP_3)
	v_mul_f32_e32 v20, 0x3fc90fda, v19
	v_alignbit_b32 v12, v15, v12, v21
	s_delay_alu instid0(VALU_DEP_3) | instskip(NEXT) | instid1(VALU_DEP_3)
	v_sub_nc_u32_e32 v14, v14, v17
	v_fma_f32 v15, 0x3fc90fda, v19, -v20
	s_delay_alu instid0(VALU_DEP_3) | instskip(NEXT) | instid1(VALU_DEP_2)
	v_lshrrev_b32_e32 v12, 9, v12
	v_fmamk_f32 v15, v19, 0x33a22168, v15
	s_delay_alu instid0(VALU_DEP_2) | instskip(NEXT) | instid1(VALU_DEP_1)
	v_or_b32_e32 v12, v14, v12
	v_fmac_f32_e32 v15, 0x3fc90fda, v12
	s_delay_alu instid0(VALU_DEP_1)
	v_add_f32_e32 v12, v20, v15
	s_or_saveexec_b32 s1, s5
	v_mul_f32_e64 v17, 0x3f22f983, |v10|
	s_xor_b32 exec_lo, exec_lo, s1
	s_branch .LBB0_14
.LBB0_13:
	s_or_saveexec_b32 s1, s5
	v_mul_f32_e64 v17, 0x3f22f983, |v10|
	s_xor_b32 exec_lo, exec_lo, s1
.LBB0_14:
	s_delay_alu instid0(VALU_DEP_1) | instskip(NEXT) | instid1(VALU_DEP_1)
	v_rndne_f32_e32 v13, v17
	v_fma_f32 v12, 0xbfc90fda, v13, |v10|
	s_delay_alu instid0(VALU_DEP_1) | instskip(NEXT) | instid1(VALU_DEP_1)
	v_fmamk_f32 v12, v13, 0xb3a22168, v12
	v_fmamk_f32 v12, v13, 0xa7c234c4, v12
	v_cvt_i32_f32_e32 v13, v13
; %bb.15:
	s_or_b32 exec_lo, exec_lo, s1
                                        ; implicit-def: $vgpr15
                                        ; implicit-def: $vgpr14
	s_and_saveexec_b32 s1, s4
	s_delay_alu instid0(SALU_CYCLE_1)
	s_xor_b32 s4, exec_lo, s1
	s_cbranch_execz .LBB0_17
; %bb.16:
	s_mov_b32 s1, 0x7fffff
	s_delay_alu instid0(SALU_CYCLE_1) | instskip(NEXT) | instid1(VALU_DEP_1)
	v_and_or_b32 v25, v11, s1, 0x800000
	v_mad_u64_u32 v[14:15], null, 0xfe5163ab, v25, 0
	s_delay_alu instid0(VALU_DEP_1) | instskip(NEXT) | instid1(VALU_DEP_1)
	v_dual_mov_b32 v18, 0 :: v_dual_mov_b32 v17, v15
	v_mad_u64_u32 v[19:20], null, 0x3c439041, v25, v[17:18]
	s_delay_alu instid0(VALU_DEP_1) | instskip(NEXT) | instid1(VALU_DEP_1)
	v_mov_b32_e32 v17, v20
	v_mad_u64_u32 v[20:21], null, 0xdb629599, v25, v[17:18]
	s_delay_alu instid0(VALU_DEP_1) | instskip(NEXT) | instid1(VALU_DEP_1)
	v_mov_b32_e32 v17, v21
	v_mad_u64_u32 v[21:22], null, 0xf534ddc0, v25, v[17:18]
	s_delay_alu instid0(VALU_DEP_1) | instskip(NEXT) | instid1(VALU_DEP_1)
	v_dual_mov_b32 v17, v22 :: v_dual_add_nc_u32 v22, 0xffffff88, v16
	v_mad_u64_u32 v[15:16], null, 0xfc2757d1, v25, v[17:18]
	s_delay_alu instid0(VALU_DEP_2) | instskip(SKIP_1) | instid1(VALU_DEP_3)
	v_cmp_lt_u32_e32 vcc_lo, 63, v22
	v_cndmask_b32_e64 v23, 0, 0xffffffc0, vcc_lo
	v_mov_b32_e32 v17, v16
	v_cndmask_b32_e32 v14, v20, v14, vcc_lo
	s_delay_alu instid0(VALU_DEP_3) | instskip(NEXT) | instid1(VALU_DEP_3)
	v_add_nc_u32_e32 v16, v23, v22
	v_mad_u64_u32 v[22:23], null, 0x4e441529, v25, v[17:18]
	s_delay_alu instid0(VALU_DEP_2) | instskip(NEXT) | instid1(VALU_DEP_2)
	v_cmp_lt_u32_e64 s1, 31, v16
	v_mov_b32_e32 v17, v23
	s_delay_alu instid0(VALU_DEP_2) | instskip(NEXT) | instid1(VALU_DEP_1)
	v_cndmask_b32_e64 v24, 0, 0xffffffe0, s1
	v_add_nc_u32_e32 v16, v24, v16
	s_delay_alu instid0(VALU_DEP_3) | instskip(SKIP_1) | instid1(VALU_DEP_3)
	v_mad_u64_u32 v[23:24], null, 0xa2f9836e, v25, v[17:18]
	v_cndmask_b32_e32 v18, v22, v21, vcc_lo
	v_cmp_lt_u32_e64 s2, 31, v16
	s_delay_alu instid0(VALU_DEP_3) | instskip(NEXT) | instid1(VALU_DEP_2)
	v_cndmask_b32_e32 v22, v24, v22, vcc_lo
	v_cndmask_b32_e64 v17, 0, 0xffffffe0, s2
	v_cndmask_b32_e32 v23, v23, v15, vcc_lo
	v_cndmask_b32_e32 v15, v15, v20, vcc_lo
	s_delay_alu instid0(VALU_DEP_3) | instskip(SKIP_1) | instid1(VALU_DEP_4)
	v_add_nc_u32_e32 v16, v17, v16
	v_cndmask_b32_e32 v17, v21, v19, vcc_lo
	v_cndmask_b32_e64 v19, v23, v18, s1
	v_cndmask_b32_e64 v21, v22, v23, s1
	;; [unrolled: 1-line block ×3, first 2 shown]
	v_sub_nc_u32_e32 v22, 32, v16
	v_cndmask_b32_e64 v15, v15, v17, s1
	v_cmp_eq_u32_e64 s3, 0, v16
	v_cndmask_b32_e64 v21, v21, v19, s2
	v_cndmask_b32_e64 v19, v19, v18, s2
	;; [unrolled: 1-line block ×4, first 2 shown]
	s_delay_alu instid0(VALU_DEP_3) | instskip(NEXT) | instid1(VALU_DEP_3)
	v_alignbit_b32 v23, v21, v19, v22
	v_cndmask_b32_e64 v14, v15, v14, s2
	s_delay_alu instid0(VALU_DEP_3) | instskip(NEXT) | instid1(VALU_DEP_3)
	v_alignbit_b32 v24, v19, v18, v22
	v_cndmask_b32_e64 v16, v23, v21, s3
	s_delay_alu instid0(VALU_DEP_3) | instskip(NEXT) | instid1(VALU_DEP_3)
	v_alignbit_b32 v22, v18, v14, v22
	v_cndmask_b32_e64 v19, v24, v19, s3
	s_delay_alu instid0(VALU_DEP_3) | instskip(NEXT) | instid1(VALU_DEP_3)
	v_bfe_u32 v20, v16, 29, 1
	v_cndmask_b32_e64 v18, v22, v18, s3
	s_delay_alu instid0(VALU_DEP_3) | instskip(NEXT) | instid1(VALU_DEP_3)
	v_alignbit_b32 v17, v16, v19, 30
	v_sub_nc_u32_e32 v21, 0, v20
	s_delay_alu instid0(VALU_DEP_3) | instskip(SKIP_1) | instid1(VALU_DEP_3)
	v_alignbit_b32 v19, v19, v18, 30
	v_alignbit_b32 v14, v18, v14, 30
	v_xor_b32_e32 v15, v17, v21
	v_cmp_ne_u32_e32 vcc_lo, v17, v21
	s_delay_alu instid0(VALU_DEP_4) | instskip(NEXT) | instid1(VALU_DEP_4)
	v_xor_b32_e32 v18, v19, v21
	v_xor_b32_e32 v14, v14, v21
	s_delay_alu instid0(VALU_DEP_4) | instskip(NEXT) | instid1(VALU_DEP_1)
	v_clz_i32_u32_e32 v23, v15
	v_add_nc_u32_e32 v22, 1, v23
	s_delay_alu instid0(VALU_DEP_1) | instskip(NEXT) | instid1(VALU_DEP_1)
	v_cndmask_b32_e32 v17, 33, v22, vcc_lo
	v_sub_nc_u32_e32 v19, 32, v17
	s_delay_alu instid0(VALU_DEP_1) | instskip(SKIP_3) | instid1(VALU_DEP_3)
	v_alignbit_b32 v15, v15, v18, v19
	v_alignbit_b32 v14, v18, v14, v19
	v_lshrrev_b32_e32 v18, 29, v16
	v_lshrrev_b32_e32 v16, 30, v16
	v_alignbit_b32 v19, v15, v14, 9
	s_delay_alu instid0(VALU_DEP_3) | instskip(SKIP_1) | instid1(VALU_DEP_3)
	v_lshlrev_b32_e32 v18, 31, v18
	v_alignbit_b32 v15, v17, v15, 9
	v_clz_i32_u32_e32 v21, v19
	s_delay_alu instid0(VALU_DEP_2) | instskip(SKIP_1) | instid1(VALU_DEP_3)
	v_or_b32_e32 v15, v15, v18
	v_or_b32_e32 v18, 0x33800000, v18
	v_min_u32_e32 v21, 32, v21
	s_delay_alu instid0(VALU_DEP_3) | instskip(NEXT) | instid1(VALU_DEP_2)
	v_xor_b32_e32 v15, 1.0, v15
	v_sub_nc_u32_e32 v22, 31, v21
	v_add_lshl_u32 v17, v21, v17, 23
	s_delay_alu instid0(VALU_DEP_3) | instskip(NEXT) | instid1(VALU_DEP_3)
	v_mul_f32_e32 v21, 0x3fc90fda, v15
	v_alignbit_b32 v14, v19, v14, v22
	s_delay_alu instid0(VALU_DEP_3) | instskip(NEXT) | instid1(VALU_DEP_3)
	v_sub_nc_u32_e32 v17, v18, v17
	v_fma_f32 v18, 0x3fc90fda, v15, -v21
	s_delay_alu instid0(VALU_DEP_3) | instskip(NEXT) | instid1(VALU_DEP_2)
	v_lshrrev_b32_e32 v14, 9, v14
	v_fmamk_f32 v15, v15, 0x33a22168, v18
	s_delay_alu instid0(VALU_DEP_2) | instskip(NEXT) | instid1(VALU_DEP_1)
	v_or_b32_e32 v14, v17, v14
                                        ; implicit-def: $vgpr17
	v_fmac_f32_e32 v15, 0x3fc90fda, v14
	s_delay_alu instid0(VALU_DEP_1)
	v_dual_add_f32 v14, v21, v15 :: v_dual_add_nc_u32 v15, v20, v16
	s_and_not1_saveexec_b32 s1, s4
	s_cbranch_execnz .LBB0_18
	s_branch .LBB0_19
.LBB0_17:
	s_and_not1_saveexec_b32 s1, s4
.LBB0_18:
	v_rndne_f32_e32 v15, v17
	s_delay_alu instid0(VALU_DEP_1) | instskip(NEXT) | instid1(VALU_DEP_1)
	v_fma_f32 v14, 0xbfc90fda, v15, |v10|
	v_fmamk_f32 v14, v15, 0xb3a22168, v14
	s_delay_alu instid0(VALU_DEP_1)
	v_fmamk_f32 v14, v15, 0xa7c234c4, v14
	v_cvt_i32_f32_e32 v15, v15
.LBB0_19:
	s_or_b32 exec_lo, exec_lo, s1
	v_add_co_u32 v16, vcc_lo, s24, v0
	v_add_co_ci_u32_e32 v17, vcc_lo, s25, v1, vcc_lo
                                        ; implicit-def: $vgpr22
                                        ; implicit-def: $vgpr20
	global_load_b32 v16, v[16:17], off
	s_waitcnt vmcnt(0)
	v_and_b32_e32 v17, 0x7fffffff, v16
	v_cmp_ngt_f32_e64 s4, 0x48000000, |v16|
	s_delay_alu instid0(VALU_DEP_2) | instskip(NEXT) | instid1(VALU_DEP_2)
	v_lshrrev_b32_e32 v18, 23, v17
	s_and_saveexec_b32 s1, s4
	s_delay_alu instid0(SALU_CYCLE_1)
	s_xor_b32 s5, exec_lo, s1
	s_cbranch_execz .LBB0_21
; %bb.20:
	s_mov_b32 s1, 0x7fffff
	v_mov_b32_e32 v21, 0
	v_and_or_b32 v29, v17, s1, 0x800000
	v_add_nc_u32_e32 v27, 0xffffff88, v18
	s_delay_alu instid0(VALU_DEP_2) | instskip(NEXT) | instid1(VALU_DEP_2)
	v_mad_u64_u32 v[19:20], null, 0xfe5163ab, v29, 0
	v_cmp_lt_u32_e32 vcc_lo, 63, v27
	v_cndmask_b32_e64 v28, 0, 0xffffffc0, vcc_lo
	s_delay_alu instid0(VALU_DEP_3) | instskip(NEXT) | instid1(VALU_DEP_2)
	v_mad_u64_u32 v[22:23], null, 0x3c439041, v29, v[20:21]
	v_add_nc_u32_e32 v28, v28, v27
	s_delay_alu instid0(VALU_DEP_2) | instskip(NEXT) | instid1(VALU_DEP_2)
	v_mov_b32_e32 v20, v23
	v_cmp_lt_u32_e64 s1, 31, v28
	s_delay_alu instid0(VALU_DEP_2) | instskip(NEXT) | instid1(VALU_DEP_2)
	v_mad_u64_u32 v[23:24], null, 0xdb629599, v29, v[20:21]
	v_cndmask_b32_e64 v30, 0, 0xffffffe0, s1
	s_delay_alu instid0(VALU_DEP_1) | instskip(NEXT) | instid1(VALU_DEP_3)
	v_dual_cndmask_b32 v19, v23, v19 :: v_dual_add_nc_u32 v30, v30, v28
	v_mov_b32_e32 v20, v24
	s_delay_alu instid0(VALU_DEP_2) | instskip(NEXT) | instid1(VALU_DEP_2)
	v_cmp_lt_u32_e64 s2, 31, v30
	v_mad_u64_u32 v[24:25], null, 0xf534ddc0, v29, v[20:21]
	s_delay_alu instid0(VALU_DEP_1) | instskip(NEXT) | instid1(VALU_DEP_2)
	v_mov_b32_e32 v20, v25
	v_cndmask_b32_e32 v22, v24, v22, vcc_lo
	s_delay_alu instid0(VALU_DEP_2) | instskip(NEXT) | instid1(VALU_DEP_2)
	v_mad_u64_u32 v[25:26], null, 0xfc2757d1, v29, v[20:21]
	v_cndmask_b32_e64 v19, v22, v19, s1
	s_delay_alu instid0(VALU_DEP_2) | instskip(NEXT) | instid1(VALU_DEP_1)
	v_mov_b32_e32 v20, v26
	v_mad_u64_u32 v[26:27], null, 0x4e441529, v29, v[20:21]
	s_delay_alu instid0(VALU_DEP_1) | instskip(NEXT) | instid1(VALU_DEP_1)
	v_mov_b32_e32 v20, v27
	v_mad_u64_u32 v[27:28], null, 0xa2f9836e, v29, v[20:21]
	v_cndmask_b32_e64 v20, 0, 0xffffffe0, s2
	s_delay_alu instid0(VALU_DEP_1) | instskip(NEXT) | instid1(VALU_DEP_3)
	v_dual_cndmask_b32 v21, v26, v24 :: v_dual_add_nc_u32 v20, v20, v30
	v_cndmask_b32_e32 v27, v27, v25, vcc_lo
	s_delay_alu instid0(VALU_DEP_4) | instskip(NEXT) | instid1(VALU_DEP_3)
	v_dual_cndmask_b32 v25, v25, v23 :: v_dual_cndmask_b32 v26, v28, v26
	v_cmp_eq_u32_e64 s3, 0, v20
	s_delay_alu instid0(VALU_DEP_3) | instskip(NEXT) | instid1(VALU_DEP_3)
	v_cndmask_b32_e64 v24, v27, v21, s1
	v_cndmask_b32_e64 v21, v21, v25, s1
	s_delay_alu instid0(VALU_DEP_4) | instskip(SKIP_2) | instid1(VALU_DEP_3)
	v_cndmask_b32_e64 v26, v26, v27, s1
	v_sub_nc_u32_e32 v27, 32, v20
	v_cndmask_b32_e64 v25, v25, v22, s1
	v_cndmask_b32_e64 v26, v26, v24, s2
	;; [unrolled: 1-line block ×3, first 2 shown]
	s_delay_alu instid0(VALU_DEP_3) | instskip(SKIP_1) | instid1(VALU_DEP_3)
	v_cndmask_b32_e64 v21, v21, v25, s2
	v_cndmask_b32_e64 v19, v25, v19, s2
	v_alignbit_b32 v28, v26, v24, v27
	s_delay_alu instid0(VALU_DEP_3) | instskip(NEXT) | instid1(VALU_DEP_3)
	v_alignbit_b32 v29, v24, v21, v27
	v_alignbit_b32 v27, v21, v19, v27
	s_delay_alu instid0(VALU_DEP_3) | instskip(NEXT) | instid1(VALU_DEP_3)
	v_cndmask_b32_e64 v20, v28, v26, s3
	v_cndmask_b32_e64 v23, v29, v24, s3
	s_delay_alu instid0(VALU_DEP_3) | instskip(NEXT) | instid1(VALU_DEP_3)
	v_cndmask_b32_e64 v21, v27, v21, s3
	v_bfe_u32 v24, v20, 29, 1
	s_delay_alu instid0(VALU_DEP_3) | instskip(NEXT) | instid1(VALU_DEP_3)
	v_alignbit_b32 v22, v20, v23, 30
	v_alignbit_b32 v23, v23, v21, 30
	;; [unrolled: 1-line block ×3, first 2 shown]
	s_delay_alu instid0(VALU_DEP_4) | instskip(NEXT) | instid1(VALU_DEP_1)
	v_sub_nc_u32_e32 v26, 0, v24
	v_xor_b32_e32 v25, v22, v26
	v_cmp_ne_u32_e32 vcc_lo, v22, v26
	v_xor_b32_e32 v21, v23, v26
	v_xor_b32_e32 v19, v19, v26
	s_delay_alu instid0(VALU_DEP_4) | instskip(NEXT) | instid1(VALU_DEP_1)
	v_clz_i32_u32_e32 v28, v25
	v_add_nc_u32_e32 v27, 1, v28
	s_delay_alu instid0(VALU_DEP_1) | instskip(NEXT) | instid1(VALU_DEP_1)
	v_cndmask_b32_e32 v22, 33, v27, vcc_lo
	v_sub_nc_u32_e32 v23, 32, v22
	s_delay_alu instid0(VALU_DEP_1) | instskip(SKIP_2) | instid1(VALU_DEP_2)
	v_alignbit_b32 v25, v25, v21, v23
	v_alignbit_b32 v19, v21, v19, v23
	v_lshrrev_b32_e32 v21, 29, v20
	v_alignbit_b32 v23, v25, v19, 9
	s_delay_alu instid0(VALU_DEP_2) | instskip(SKIP_1) | instid1(VALU_DEP_3)
	v_lshlrev_b32_e32 v21, 31, v21
	v_alignbit_b32 v25, v22, v25, 9
	v_clz_i32_u32_e32 v26, v23
	s_delay_alu instid0(VALU_DEP_2) | instskip(SKIP_1) | instid1(VALU_DEP_3)
	v_or_b32_e32 v25, v25, v21
	v_or_b32_e32 v21, 0x33800000, v21
	v_min_u32_e32 v26, 32, v26
	s_delay_alu instid0(VALU_DEP_3) | instskip(NEXT) | instid1(VALU_DEP_2)
	v_xor_b32_e32 v25, 1.0, v25
	v_sub_nc_u32_e32 v27, 31, v26
	v_add_lshl_u32 v22, v26, v22, 23
	s_delay_alu instid0(VALU_DEP_3) | instskip(NEXT) | instid1(VALU_DEP_3)
	v_mul_f32_e32 v26, 0x3fc90fda, v25
	v_alignbit_b32 v19, v23, v19, v27
	s_delay_alu instid0(VALU_DEP_3) | instskip(NEXT) | instid1(VALU_DEP_3)
	v_sub_nc_u32_e32 v21, v21, v22
	v_fma_f32 v22, 0x3fc90fda, v25, -v26
	s_delay_alu instid0(VALU_DEP_3) | instskip(NEXT) | instid1(VALU_DEP_2)
	v_lshrrev_b32_e32 v19, 9, v19
	v_fmamk_f32 v22, v25, 0x33a22168, v22
	s_delay_alu instid0(VALU_DEP_2) | instskip(NEXT) | instid1(VALU_DEP_1)
	v_or_b32_e32 v19, v21, v19
	v_fmac_f32_e32 v22, 0x3fc90fda, v19
	v_lshrrev_b32_e32 v19, 30, v20
	s_delay_alu instid0(VALU_DEP_2) | instskip(NEXT) | instid1(VALU_DEP_2)
	v_add_f32_e32 v20, v26, v22
	v_add_nc_u32_e32 v22, v24, v19
	s_or_saveexec_b32 s1, s5
	v_mul_f32_e64 v19, 0x3f22f983, |v16|
	s_xor_b32 exec_lo, exec_lo, s1
	s_branch .LBB0_22
.LBB0_21:
	s_or_saveexec_b32 s1, s5
	v_mul_f32_e64 v19, 0x3f22f983, |v16|
	s_xor_b32 exec_lo, exec_lo, s1
.LBB0_22:
	s_delay_alu instid0(VALU_DEP_1) | instskip(NEXT) | instid1(VALU_DEP_1)
	v_rndne_f32_e32 v21, v19
	v_fma_f32 v20, 0xbfc90fda, v21, |v16|
	v_cvt_i32_f32_e32 v22, v21
	s_delay_alu instid0(VALU_DEP_2) | instskip(NEXT) | instid1(VALU_DEP_1)
	v_fmamk_f32 v20, v21, 0xb3a22168, v20
	v_fmamk_f32 v20, v21, 0xa7c234c4, v20
; %bb.23:
	s_or_b32 exec_lo, exec_lo, s1
                                        ; implicit-def: $vgpr24
                                        ; implicit-def: $vgpr23
	s_and_saveexec_b32 s1, s4
	s_delay_alu instid0(SALU_CYCLE_1)
	s_xor_b32 s4, exec_lo, s1
	s_cbranch_execz .LBB0_25
; %bb.24:
	s_mov_b32 s1, 0x7fffff
	v_mov_b32_e32 v25, 0
	v_and_or_b32 v21, v17, s1, 0x800000
	s_delay_alu instid0(VALU_DEP_1) | instskip(NEXT) | instid1(VALU_DEP_1)
	v_mad_u64_u32 v[23:24], null, 0xfe5163ab, v21, 0
	v_mad_u64_u32 v[26:27], null, 0x3c439041, v21, v[24:25]
	s_delay_alu instid0(VALU_DEP_1) | instskip(NEXT) | instid1(VALU_DEP_1)
	v_mov_b32_e32 v24, v27
	v_mad_u64_u32 v[27:28], null, 0xdb629599, v21, v[24:25]
	s_delay_alu instid0(VALU_DEP_1) | instskip(NEXT) | instid1(VALU_DEP_1)
	v_mov_b32_e32 v24, v28
	v_mad_u64_u32 v[28:29], null, 0xf534ddc0, v21, v[24:25]
	s_delay_alu instid0(VALU_DEP_1) | instskip(NEXT) | instid1(VALU_DEP_1)
	v_dual_mov_b32 v24, v29 :: v_dual_add_nc_u32 v29, 0xffffff88, v18
	v_mad_u64_u32 v[18:19], null, 0xfc2757d1, v21, v[24:25]
	s_delay_alu instid0(VALU_DEP_2) | instskip(SKIP_1) | instid1(VALU_DEP_3)
	v_cmp_lt_u32_e32 vcc_lo, 63, v29
	v_cndmask_b32_e64 v30, 0, 0xffffffc0, vcc_lo
	v_mov_b32_e32 v24, v19
	v_cndmask_b32_e32 v23, v27, v23, vcc_lo
	s_delay_alu instid0(VALU_DEP_3) | instskip(NEXT) | instid1(VALU_DEP_3)
	v_add_nc_u32_e32 v19, v30, v29
	v_mad_u64_u32 v[29:30], null, 0x4e441529, v21, v[24:25]
	s_delay_alu instid0(VALU_DEP_2) | instskip(NEXT) | instid1(VALU_DEP_1)
	v_cmp_lt_u32_e64 s1, 31, v19
	v_cndmask_b32_e64 v31, 0, 0xffffffe0, s1
	s_delay_alu instid0(VALU_DEP_1) | instskip(NEXT) | instid1(VALU_DEP_1)
	v_dual_mov_b32 v24, v30 :: v_dual_add_nc_u32 v19, v31, v19
	v_mad_u64_u32 v[30:31], null, 0xa2f9836e, v21, v[24:25]
	v_cndmask_b32_e32 v24, v29, v28, vcc_lo
	s_delay_alu instid0(VALU_DEP_3) | instskip(NEXT) | instid1(VALU_DEP_3)
	v_cmp_lt_u32_e64 s2, 31, v19
	v_cndmask_b32_e32 v29, v31, v29, vcc_lo
	s_delay_alu instid0(VALU_DEP_2) | instskip(SKIP_2) | instid1(VALU_DEP_3)
	v_cndmask_b32_e64 v21, 0, 0xffffffe0, s2
	v_cndmask_b32_e32 v25, v30, v18, vcc_lo
	v_cndmask_b32_e32 v18, v18, v27, vcc_lo
	v_add_nc_u32_e32 v19, v21, v19
	v_cndmask_b32_e32 v21, v28, v26, vcc_lo
	s_delay_alu instid0(VALU_DEP_4)
	v_cndmask_b32_e64 v26, v25, v24, s1
	v_cndmask_b32_e64 v25, v29, v25, s1
	;; [unrolled: 1-line block ×3, first 2 shown]
	v_sub_nc_u32_e32 v28, 32, v19
	v_cndmask_b32_e64 v18, v18, v21, s1
	v_cmp_eq_u32_e64 s3, 0, v19
	v_cndmask_b32_e64 v25, v25, v26, s2
	v_cndmask_b32_e64 v26, v26, v24, s2
	;; [unrolled: 1-line block ×4, first 2 shown]
	s_delay_alu instid0(VALU_DEP_3) | instskip(NEXT) | instid1(VALU_DEP_3)
	v_alignbit_b32 v29, v25, v26, v28
	v_cndmask_b32_e64 v18, v18, v21, s2
	s_delay_alu instid0(VALU_DEP_3) | instskip(NEXT) | instid1(VALU_DEP_3)
	v_alignbit_b32 v30, v26, v24, v28
	v_cndmask_b32_e64 v19, v29, v25, s3
	;; [unrolled: 3-line block ×3, first 2 shown]
	s_delay_alu instid0(VALU_DEP_3) | instskip(NEXT) | instid1(VALU_DEP_3)
	v_bfe_u32 v26, v19, 29, 1
	v_cndmask_b32_e64 v24, v28, v24, s3
	s_delay_alu instid0(VALU_DEP_3) | instskip(NEXT) | instid1(VALU_DEP_3)
	v_alignbit_b32 v23, v19, v25, 30
	v_sub_nc_u32_e32 v27, 0, v26
	s_delay_alu instid0(VALU_DEP_3) | instskip(SKIP_1) | instid1(VALU_DEP_3)
	v_alignbit_b32 v25, v25, v24, 30
	v_alignbit_b32 v18, v24, v18, 30
	v_xor_b32_e32 v21, v23, v27
	v_cmp_ne_u32_e32 vcc_lo, v23, v27
	s_delay_alu instid0(VALU_DEP_4) | instskip(NEXT) | instid1(VALU_DEP_4)
	v_xor_b32_e32 v24, v25, v27
	v_xor_b32_e32 v18, v18, v27
	s_delay_alu instid0(VALU_DEP_4) | instskip(NEXT) | instid1(VALU_DEP_1)
	v_clz_i32_u32_e32 v29, v21
	v_add_nc_u32_e32 v28, 1, v29
	s_delay_alu instid0(VALU_DEP_1) | instskip(NEXT) | instid1(VALU_DEP_1)
	v_cndmask_b32_e32 v23, 33, v28, vcc_lo
	v_sub_nc_u32_e32 v25, 32, v23
	s_delay_alu instid0(VALU_DEP_1) | instskip(SKIP_2) | instid1(VALU_DEP_2)
	v_alignbit_b32 v21, v21, v24, v25
	v_alignbit_b32 v18, v24, v18, v25
	v_lshrrev_b32_e32 v24, 29, v19
	v_alignbit_b32 v25, v21, v18, 9
	s_delay_alu instid0(VALU_DEP_2) | instskip(SKIP_1) | instid1(VALU_DEP_3)
	v_lshlrev_b32_e32 v24, 31, v24
	v_alignbit_b32 v21, v23, v21, 9
	v_clz_i32_u32_e32 v27, v25
	s_delay_alu instid0(VALU_DEP_2) | instskip(NEXT) | instid1(VALU_DEP_2)
	v_or_b32_e32 v21, v21, v24
	v_min_u32_e32 v27, 32, v27
	s_delay_alu instid0(VALU_DEP_2) | instskip(NEXT) | instid1(VALU_DEP_2)
	v_xor_b32_e32 v21, 1.0, v21
	v_sub_nc_u32_e32 v28, 31, v27
	v_add_lshl_u32 v23, v27, v23, 23
	s_delay_alu instid0(VALU_DEP_3) | instskip(SKIP_1) | instid1(VALU_DEP_4)
	v_mul_f32_e32 v27, 0x3fc90fda, v21
	v_or_b32_e32 v24, 0x33800000, v24
	v_alignbit_b32 v18, v25, v18, v28
	s_delay_alu instid0(VALU_DEP_2) | instskip(NEXT) | instid1(VALU_DEP_4)
	v_sub_nc_u32_e32 v23, v24, v23
	v_fma_f32 v24, 0x3fc90fda, v21, -v27
	s_delay_alu instid0(VALU_DEP_3) | instskip(NEXT) | instid1(VALU_DEP_2)
	v_lshrrev_b32_e32 v18, 9, v18
	v_fmamk_f32 v21, v21, 0x33a22168, v24
	s_delay_alu instid0(VALU_DEP_2) | instskip(NEXT) | instid1(VALU_DEP_1)
	v_or_b32_e32 v18, v23, v18
	v_fmac_f32_e32 v21, 0x3fc90fda, v18
	v_lshrrev_b32_e32 v18, 30, v19
                                        ; implicit-def: $vgpr19
	s_delay_alu instid0(VALU_DEP_1)
	v_dual_add_f32 v23, v27, v21 :: v_dual_add_nc_u32 v24, v26, v18
	s_and_not1_saveexec_b32 s1, s4
	s_cbranch_execnz .LBB0_26
	s_branch .LBB0_27
.LBB0_25:
	s_and_not1_saveexec_b32 s1, s4
.LBB0_26:
	v_rndne_f32_e32 v18, v19
	s_delay_alu instid0(VALU_DEP_1) | instskip(SKIP_1) | instid1(VALU_DEP_2)
	v_fma_f32 v19, 0xbfc90fda, v18, |v16|
	v_cvt_i32_f32_e32 v24, v18
	v_fmamk_f32 v19, v18, 0xb3a22168, v19
	s_delay_alu instid0(VALU_DEP_1)
	v_fmamk_f32 v23, v18, 0xa7c234c4, v19
.LBB0_27:
	s_or_b32 exec_lo, exec_lo, s1
	v_add_co_u32 v18, vcc_lo, s26, v0
	v_add_co_ci_u32_e32 v19, vcc_lo, s27, v1, vcc_lo
	v_add_co_u32 v25, vcc_lo, s28, v0
	v_add_co_ci_u32_e32 v26, vcc_lo, s29, v1, vcc_lo
	v_add_co_u32 v0, vcc_lo, s30, v0
	v_add_co_ci_u32_e32 v1, vcc_lo, s31, v1, vcc_lo
	global_load_b32 v18, v[18:19], off
	global_load_b32 v19, v[25:26], off
	;; [unrolled: 1-line block ×3, first 2 shown]
	s_mov_b32 s3, 0xb94c1982
	v_mul_f32_e32 v26, v14, v14
	v_dual_mul_f32 v0, v20, v20 :: v_dual_and_b32 v27, 1, v22
	v_lshlrev_b32_e32 v22, 30, v22
	s_mov_b32 s4, 0x37d75334
	v_xor_b32_e32 v17, v17, v16
	s_delay_alu instid0(VALU_DEP_3)
	v_fmaak_f32 v1, s3, v0, 0x3c0881c4
	v_cmp_eq_u32_e32 vcc_lo, 0, v27
	v_xor_b32_e32 v11, v11, v10
	v_xor_b32_e32 v3, v3, v2
	s_mov_b64 s[22:23], 0
	v_fmaak_f32 v1, v0, v1, 0xbe2aaa9d
	s_waitcnt vmcnt(0) lgkmcnt(0)
	s_barrier
	buffer_gl0_inv
	v_mul_f32_e32 v1, v0, v1
	s_delay_alu instid0(VALU_DEP_1) | instskip(NEXT) | instid1(VALU_DEP_1)
	v_dual_fmac_f32 v20, v20, v1 :: v_dual_fmaak_f32 v1, s3, v26, 0x3c0881c4
	v_fmaak_f32 v1, v26, v1, 0xbe2aaa9d
	s_delay_alu instid0(VALU_DEP_1) | instskip(NEXT) | instid1(VALU_DEP_1)
	v_mul_f32_e32 v1, v26, v1
	v_dual_fmaak_f32 v25, s4, v0, 0xbab64f3b :: v_dual_fmac_f32 v14, v14, v1
	s_delay_alu instid0(VALU_DEP_1) | instskip(NEXT) | instid1(VALU_DEP_1)
	v_fmaak_f32 v25, v0, v25, 0x3d2aabf7
	v_fmaak_f32 v25, v0, v25, 0xbf000004
	s_delay_alu instid0(VALU_DEP_1) | instskip(SKIP_1) | instid1(VALU_DEP_2)
	v_fma_f32 v0, v0, v25, 1.0
	v_fmaak_f32 v25, s4, v26, 0xbab64f3b
	v_cndmask_b32_e32 v0, v0, v20, vcc_lo
	v_and_b32_e32 v20, 0x80000000, v22
	s_delay_alu instid0(VALU_DEP_3) | instskip(NEXT) | instid1(VALU_DEP_2)
	v_dual_fmaak_f32 v22, v26, v25, 0x3d2aabf7 :: v_dual_mul_f32 v25, v12, v12
	v_xor3_b32 v0, v17, v20, v0
	s_delay_alu instid0(VALU_DEP_2) | instskip(SKIP_1) | instid1(VALU_DEP_4)
	v_dual_fmaak_f32 v22, v26, v22, 0xbf000004 :: v_dual_and_b32 v17, 1, v15
	v_lshlrev_b32_e32 v15, 30, v15
	v_fmaak_f32 v1, s3, v25, 0x3c0881c4
	s_delay_alu instid0(VALU_DEP_3)
	v_fma_f32 v20, v26, v22, 1.0
	v_fmaak_f32 v22, s4, v25, 0xbab64f3b
	v_cmp_eq_u32_e32 vcc_lo, 0, v17
	v_and_b32_e32 v15, 0x80000000, v15
	v_fmaak_f32 v1, v25, v1, 0xbe2aaa9d
	v_cndmask_b32_e64 v14, -v14, v20, vcc_lo
	v_mul_f32_e32 v20, v9, v9
	s_delay_alu instid0(VALU_DEP_3) | instskip(SKIP_3) | instid1(VALU_DEP_4)
	v_mul_f32_e32 v1, v25, v1
	v_fmaak_f32 v17, v25, v22, 0x3d2aabf7
	v_cmp_class_f32_e64 vcc_lo, v16, 0x1f8
	v_xor_b32_e32 v14, v15, v14
	v_dual_fmaak_f32 v15, s3, v20, 0x3c0881c4 :: v_dual_fmac_f32 v12, v12, v1
	v_cndmask_b32_e32 v0, 0x7fc00000, v0, vcc_lo
	s_delay_alu instid0(VALU_DEP_2) | instskip(NEXT) | instid1(VALU_DEP_1)
	v_fmaak_f32 v15, v20, v15, 0xbe2aaa9d
	v_dual_fmaak_f32 v16, v25, v17, 0xbf000004 :: v_dual_mul_f32 v15, v20, v15
	s_delay_alu instid0(VALU_DEP_1) | instskip(NEXT) | instid1(VALU_DEP_2)
	v_fma_f32 v16, v25, v16, 1.0
	v_fmac_f32_e32 v9, v9, v15
	v_mul_f32_e32 v15, v23, v23
	v_and_b32_e32 v1, 1, v13
	v_lshlrev_b32_e32 v13, 30, v13
	s_delay_alu instid0(VALU_DEP_2) | instskip(NEXT) | instid1(VALU_DEP_1)
	v_cmp_eq_u32_e64 s1, 0, v1
	v_cndmask_b32_e64 v1, v16, v12, s1
	v_cmp_class_f32_e64 s1, v10, 0x1f8
	v_mul_f32_e32 v16, v6, v6
	v_and_b32_e32 v12, 0x80000000, v13
	s_delay_alu instid0(VALU_DEP_3) | instskip(SKIP_1) | instid1(VALU_DEP_3)
	v_cndmask_b32_e64 v14, 0x7fc00000, v14, s1
	v_fmaak_f32 v17, s4, v20, 0xbab64f3b
	v_xor3_b32 v1, v11, v12, v1
	v_fmaak_f32 v11, s3, v16, 0x3c0881c4
	v_and_b32_e32 v12, 1, v8
	s_delay_alu instid0(VALU_DEP_4) | instskip(NEXT) | instid1(VALU_DEP_3)
	v_dual_fmaak_f32 v13, v20, v17, 0x3d2aabf7 :: v_dual_lshlrev_b32 v8, 30, v8
	v_fmaak_f32 v11, v16, v11, 0xbe2aaa9d
	s_delay_alu instid0(VALU_DEP_3) | instskip(NEXT) | instid1(VALU_DEP_3)
	v_cmp_eq_u32_e64 s2, 0, v12
	v_and_b32_e32 v8, 0x80000000, v8
	s_delay_alu instid0(VALU_DEP_4) | instskip(SKIP_3) | instid1(VALU_DEP_4)
	v_fmaak_f32 v10, v20, v13, 0xbf000004
	v_fmaak_f32 v13, s4, v16, 0xbab64f3b
	v_mul_f32_e32 v11, v16, v11
	v_fmaak_f32 v12, s3, v15, 0x3c0881c4
	v_fma_f32 v10, v20, v10, 1.0
	s_delay_alu instid0(VALU_DEP_2) | instskip(NEXT) | instid1(VALU_DEP_2)
	v_dual_fmac_f32 v6, v6, v11 :: v_dual_fmaak_f32 v11, v15, v12, 0xbe2aaa9d
	v_cndmask_b32_e64 v9, -v9, v10, s2
	v_fmaak_f32 v10, v16, v13, 0x3d2aabf7
	v_fmaak_f32 v13, s4, v15, 0xbab64f3b
	s_delay_alu instid0(VALU_DEP_4) | instskip(NEXT) | instid1(VALU_DEP_4)
	v_mul_f32_e32 v11, v15, v11
	v_xor_b32_e32 v8, v8, v9
	s_delay_alu instid0(VALU_DEP_4) | instskip(NEXT) | instid1(VALU_DEP_4)
	v_fmaak_f32 v10, v16, v10, 0xbf000004
	v_dual_fmaak_f32 v12, v15, v13, 0x3d2aabf7 :: v_dual_and_b32 v13, 1, v7
	s_delay_alu instid0(VALU_DEP_4) | instskip(NEXT) | instid1(VALU_DEP_3)
	v_fmac_f32_e32 v23, v23, v11
	v_fma_f32 v10, v16, v10, 1.0
	v_mov_b32_e32 v16, 0
	s_delay_alu instid0(VALU_DEP_4) | instskip(NEXT) | instid1(VALU_DEP_1)
	v_cmp_eq_u32_e64 s2, 0, v13
	v_cndmask_b32_e64 v10, v10, v6, s2
	v_lshlrev_b32_e32 v6, 30, v7
	v_and_b32_e32 v7, 1, v24
	v_fmaak_f32 v12, v15, v12, 0xbf000004
	s_delay_alu instid0(VALU_DEP_3) | instskip(NEXT) | instid1(VALU_DEP_3)
	v_and_b32_e32 v13, 0x80000000, v6
	v_cmp_eq_u32_e64 s2, 0, v7
	s_delay_alu instid0(VALU_DEP_3)
	v_fma_f32 v11, v15, v12, 1.0
	v_lshlrev_b32_e32 v12, 30, v24
	v_cndmask_b32_e64 v6, 0x7fc00000, v1, s1
	v_cmp_class_f32_e64 s1, v2, 0x1f8
	v_xor3_b32 v1, v3, v13, v10
	v_cndmask_b32_e64 v7, -v23, v11, s2
	v_and_b32_e32 v11, 0x80000000, v12
	v_cmp_gt_u64_e64 s2, s[8:9], 1
	v_cndmask_b32_e64 v3, 0x7fc00000, v8, s1
	v_cndmask_b32_e64 v1, 0x7fc00000, v1, s1
	v_cmp_gt_u64_e64 s1, s[10:11], 1
	v_xor_b32_e32 v2, v11, v7
	s_delay_alu instid0(VALU_DEP_4) | instskip(NEXT) | instid1(VALU_DEP_4)
	v_dual_mul_f32 v11, v14, v0 :: v_dual_mul_f32 v12, v3, v6
	v_dual_mul_f32 v13, v1, v6 :: v_dual_mul_f32 v10, v3, v0
	s_delay_alu instid0(VALU_DEP_3)
	v_cndmask_b32_e32 v2, 0x7fc00000, v2, vcc_lo
	s_and_b32 s1, s1, exec_lo
	s_cselect_b32 s15, s11, 0
	s_cselect_b32 s14, s10, 1
	s_and_b32 s1, s2, exec_lo
	v_mul_f32_e32 v7, v12, v2
	v_mul_f32_e32 v9, v3, v2
	;; [unrolled: 1-line block ×4, first 2 shown]
	v_fma_f32 v10, v13, v2, -v10
	v_fmac_f32_e32 v7, v1, v0
	v_fmac_f32_e32 v9, v13, v0
	v_fma_f32 v12, v12, v0, -v15
	v_mul_f32_e32 v13, v1, v14
	v_dual_mul_f32 v14, v3, v14 :: v_dual_mov_b32 v15, 0
	s_cselect_b32 s21, s9, 0
	s_cselect_b32 s20, s8, 1
	s_add_u32 s16, s16, 8
	s_addc_u32 s17, s17, 0
.LBB0_28:                               ; =>This Loop Header: Depth=1
                                        ;     Child Loop BB0_29 Depth 2
	s_lshl_b64 s[2:3], s[22:23], 4
	s_mov_b64 s[24:25], s[14:15]
	s_add_u32 s2, s18, s2
	s_addc_u32 s3, s19, s3
	s_mov_b64 s[26:27], s[16:17]
	global_load_b128 v[22:25], v16, s[2:3]
	s_waitcnt vmcnt(0)
	v_fma_f32 v17, v8, v22, v18
	v_lshlrev_b32_e32 v0, 4, v25
	v_fma_f32 v20, v11, v22, v19
	v_fma_f32 v22, -v6, v22, v21
	s_delay_alu instid0(VALU_DEP_3) | instskip(NEXT) | instid1(VALU_DEP_3)
	v_dual_fmac_f32 v17, v10, v23 :: v_dual_add_nc_u32 v0, 0, v0
	v_fmac_f32_e32 v20, v9, v23
	s_delay_alu instid0(VALU_DEP_2)
	v_dual_fmac_f32 v22, v13, v23 :: v_dual_fmac_f32 v17, v7, v24
	ds_load_b128 v[0:3], v0
	v_fmac_f32_e32 v20, v12, v24
	v_fmac_f32_e32 v22, v14, v24
	s_waitcnt lgkmcnt(0)
	v_cmp_gt_f32_e64 s2, 0, v2
	v_cmp_lt_f32_e64 s1, 0, v2
	v_cmp_eq_u32_e64 s3, 0x46, v0
	v_cmp_eq_u32_e64 s4, 0x45, v0
	s_delay_alu instid0(VALU_DEP_4)
	v_cndmask_b32_e64 v0, 1.0, 0x40b00000, s2
	v_cndmask_b32_e64 v23, 0xff7fffff, 1.0, s2
.LBB0_29:                               ;   Parent Loop BB0_28 Depth=1
                                        ; =>  This Inner Loop Header: Depth=2
	global_load_b128 v[24:27], v16, s[26:27] offset:-8
	s_waitcnt vmcnt(0)
	v_dual_sub_f32 v28, v17, v24 :: v_dual_lshlrev_b32 v27, 4, v27
	v_dual_sub_f32 v24, v20, v25 :: v_dual_sub_f32 v29, v22, v26
	s_delay_alu instid0(VALU_DEP_1) | instskip(SKIP_4) | instid1(VALU_DEP_2)
	v_dual_mul_f32 v30, v24, v24 :: v_dual_add_nc_u32 v25, 0, v27
	ds_load_b128 v[24:27], v25
	s_waitcnt lgkmcnt(0)
	v_dual_fmac_f32 v30, v28, v28 :: v_dual_add_f32 v25, v1, v25
	v_cmp_gt_f32_e64 s9, 0, v26
	v_dual_fmac_f32 v30, v29, v29 :: v_dual_mul_f32 v27, v3, v27
	v_cmp_eq_u32_e64 s5, 0x46, v24
	v_cmp_eq_u32_e64 s6, 0x45, v24
	s_delay_alu instid0(VALU_DEP_4) | instskip(NEXT) | instid1(VALU_DEP_4)
	v_cndmask_b32_e64 v24, v23, v0, s9
	v_mul_f32_e32 v28, 0x4f800000, v30
	v_cmp_gt_f32_e32 vcc_lo, 0xf800000, v30
	v_cmp_lt_f32_e64 s7, 0, v26
	s_and_b32 s11, s5, s3
	v_div_scale_f32 v34, null, v24, v24, 1.0
	s_and_b32 s5, s9, s1
	v_cmp_neq_f32_e64 s8, 0, v26
	v_cndmask_b32_e64 v26, v26, -v26, s5
	s_delay_alu instid0(VALU_DEP_3) | instskip(SKIP_4) | instid1(VALU_DEP_3)
	v_rcp_f32_e32 v39, v34
	v_cndmask_b32_e32 v28, v30, v28, vcc_lo
	s_and_b32 s5, s7, s2
	v_div_scale_f32 v30, null, v25, v25, 1.0
	v_cndmask_b32_e64 v33, v2, -v2, s5
	v_sqrt_f32_e32 v29, v28
	v_div_scale_f32 v31, s10, 1.0, v25, 1.0
	s_delay_alu instid0(VALU_DEP_3) | instskip(NEXT) | instid1(VALU_DEP_2)
	v_rcp_f32_e32 v37, v30
	v_add_f32_e32 v26, v26, v33
	v_div_scale_f32 v35, s5, 1.0, v24, 1.0
	v_cndmask_b32_e64 v32, 2.0, 4.0, s11
	v_cndmask_b32_e64 v36, 0.5, 0x3e800000, s11
	s_delay_alu instid0(TRANS32_DEP_2) | instskip(SKIP_1) | instid1(TRANS32_DEP_1)
	v_add_nc_u32_e32 v38, -1, v29
	v_add_nc_u32_e32 v40, 1, v29
	v_fma_f32 v42, -v30, v37, 1.0
	s_delay_alu instid0(VALU_DEP_3) | instskip(NEXT) | instid1(VALU_DEP_2)
	v_fma_f32 v33, -v38, v29, v28
	v_fmac_f32_e32 v37, v42, v37
	s_delay_alu instid0(VALU_DEP_2) | instskip(SKIP_1) | instid1(VALU_DEP_1)
	v_cmp_ge_f32_e64 s7, 0, v33
	v_fma_f32 v33, -v34, v39, 1.0
	v_fmac_f32_e32 v39, v33, v39
	v_fma_f32 v41, -v40, v29, v28
	s_delay_alu instid0(VALU_DEP_4) | instskip(NEXT) | instid1(VALU_DEP_2)
	v_cndmask_b32_e64 v29, v29, v38, s7
	v_cmp_lt_f32_e64 s7, 0, v41
	s_delay_alu instid0(VALU_DEP_1) | instskip(NEXT) | instid1(VALU_DEP_1)
	v_cndmask_b32_e64 v29, v29, v40, s7
	v_mul_f32_e32 v38, 0x37800000, v29
	s_delay_alu instid0(VALU_DEP_1) | instskip(SKIP_1) | instid1(VALU_DEP_2)
	v_cndmask_b32_e32 v29, v29, v38, vcc_lo
	v_cmp_class_f32_e64 vcc_lo, v28, 0x260
	v_dual_mul_f32 v33, v31, v37 :: v_dual_cndmask_b32 v28, v29, v28
	s_delay_alu instid0(VALU_DEP_1) | instskip(SKIP_2) | instid1(VALU_DEP_2)
	v_fma_f32 v41, -v30, v33, v31
	v_mul_f32_e32 v40, v35, v39
	s_mov_b32 vcc_lo, s10
	v_fmac_f32_e32 v33, v41, v37
	s_delay_alu instid0(VALU_DEP_2) | instskip(NEXT) | instid1(VALU_DEP_2)
	v_fma_f32 v38, -v34, v40, v35
	v_fma_f32 v29, -v30, v33, v31
	v_sub_f32_e32 v30, v28, v25
	s_delay_alu instid0(VALU_DEP_2) | instskip(NEXT) | instid1(VALU_DEP_2)
	v_div_fmas_f32 v29, v29, v37, v33
	v_fma_f32 v33, -v30, v36, 1.0
	v_cmp_gt_f32_e64 s7, 0, v30
	v_cmp_lt_f32_e32 vcc_lo, v30, v32
	v_cmp_lt_f32_e64 s9, v30, v24
	v_div_fixup_f32 v25, v29, v25, 1.0
	s_delay_alu instid0(VALU_DEP_4)
	v_cndmask_b32_e64 v33, v33, 1.0, s7
	v_cndmask_b32_e64 v32, 0, 1.0, vcc_lo
	v_fmac_f32_e32 v40, v38, v39
	s_mov_b32 vcc_lo, s5
	s_and_b32 s5, s8, s9
	v_fma_f32 v25, -v28, v25, 1.0
	v_mul_f32_e32 v29, v32, v33
	v_fma_f32 v31, -v34, v40, v35
	v_cndmask_b32_e64 v34, 0, 0x42980000, s7
	v_cndmask_b32_e64 v28, 0, 1.0, s5
	s_or_b32 s5, s6, s4
	v_mul_f32_e32 v27, v27, v29
	v_div_fmas_f32 v31, v31, v39, v40
	s_delay_alu instid0(VALU_DEP_3) | instskip(SKIP_1) | instid1(VALU_DEP_3)
	v_dual_fmac_f32 v15, v25, v34 :: v_dual_mul_f32 v26, v26, v28
	s_add_u32 s26, s26, 16
	v_cndmask_b32_e64 v25, v27, -|v27|, s5
	s_delay_alu instid0(VALU_DEP_3)
	v_div_fixup_f32 v24, v31, v24, 1.0
	s_addc_u32 s27, s27, 0
	s_add_u32 s24, s24, -1
	s_addc_u32 s25, s25, -1
	v_fmac_f32_e32 v15, 0x42340000, v25
	v_fma_f32 v24, -v30, v24, 1.0
	s_cmp_lg_u64 s[24:25], 0
	s_delay_alu instid0(VALU_DEP_1) | instskip(NEXT) | instid1(VALU_DEP_1)
	v_cndmask_b32_e64 v24, v24, 1.0, s7
	v_fmac_f32_e32 v15, v26, v24
	s_cbranch_scc1 .LBB0_29
; %bb.30:                               ;   in Loop: Header=BB0_28 Depth=1
	s_add_u32 s22, s22, 1
	s_addc_u32 s23, s23, 0
	s_delay_alu instid0(SALU_CYCLE_1)
	s_cmp_lg_u64 s[22:23], s[20:21]
	s_cbranch_scc1 .LBB0_28
; %bb.31:
	s_and_saveexec_b32 s1, s0
	s_cbranch_execz .LBB0_33
; %bb.32:
	v_lshlrev_b64 v[0:1], 2, v[4:5]
	v_mul_f32_e32 v2, 0.5, v15
	s_delay_alu instid0(VALU_DEP_2) | instskip(NEXT) | instid1(VALU_DEP_3)
	v_add_co_u32 v0, vcc_lo, s12, v0
	v_add_co_ci_u32_e32 v1, vcc_lo, s13, v1, vcc_lo
	global_store_b32 v[0:1], v2, off
.LBB0_33:
	s_nop 0
	s_sendmsg sendmsg(MSG_DEALLOC_VGPRS)
	s_endpgm
	.section	.rodata,"a",@progbits
	.p2align	6, 0x0
	.amdhsa_kernel _Z11fasten_mainmmmmPK4AtomS1_PKfS3_S3_S3_S3_S3_PK8FFParamsPf
		.amdhsa_group_segment_fixed_size 0
		.amdhsa_private_segment_fixed_size 0
		.amdhsa_kernarg_size 368
		.amdhsa_user_sgpr_count 15
		.amdhsa_user_sgpr_dispatch_ptr 0
		.amdhsa_user_sgpr_queue_ptr 0
		.amdhsa_user_sgpr_kernarg_segment_ptr 1
		.amdhsa_user_sgpr_dispatch_id 0
		.amdhsa_user_sgpr_private_segment_size 0
		.amdhsa_wavefront_size32 1
		.amdhsa_uses_dynamic_stack 0
		.amdhsa_enable_private_segment 0
		.amdhsa_system_sgpr_workgroup_id_x 1
		.amdhsa_system_sgpr_workgroup_id_y 0
		.amdhsa_system_sgpr_workgroup_id_z 0
		.amdhsa_system_sgpr_workgroup_info 0
		.amdhsa_system_vgpr_workitem_id 0
		.amdhsa_next_free_vgpr 43
		.amdhsa_next_free_sgpr 35
		.amdhsa_reserve_vcc 1
		.amdhsa_float_round_mode_32 0
		.amdhsa_float_round_mode_16_64 0
		.amdhsa_float_denorm_mode_32 3
		.amdhsa_float_denorm_mode_16_64 3
		.amdhsa_dx10_clamp 1
		.amdhsa_ieee_mode 1
		.amdhsa_fp16_overflow 0
		.amdhsa_workgroup_processor_mode 1
		.amdhsa_memory_ordered 1
		.amdhsa_forward_progress 0
		.amdhsa_shared_vgpr_count 0
		.amdhsa_exception_fp_ieee_invalid_op 0
		.amdhsa_exception_fp_denorm_src 0
		.amdhsa_exception_fp_ieee_div_zero 0
		.amdhsa_exception_fp_ieee_overflow 0
		.amdhsa_exception_fp_ieee_underflow 0
		.amdhsa_exception_fp_ieee_inexact 0
		.amdhsa_exception_int_div_zero 0
	.end_amdhsa_kernel
	.text
.Lfunc_end0:
	.size	_Z11fasten_mainmmmmPK4AtomS1_PKfS3_S3_S3_S3_S3_PK8FFParamsPf, .Lfunc_end0-_Z11fasten_mainmmmmPK4AtomS1_PKfS3_S3_S3_S3_S3_PK8FFParamsPf
                                        ; -- End function
	.section	.AMDGPU.csdata,"",@progbits
; Kernel info:
; codeLenInByte = 7084
; NumSgprs: 37
; NumVgprs: 43
; ScratchSize: 0
; MemoryBound: 0
; FloatMode: 240
; IeeeMode: 1
; LDSByteSize: 0 bytes/workgroup (compile time only)
; SGPRBlocks: 4
; VGPRBlocks: 5
; NumSGPRsForWavesPerEU: 37
; NumVGPRsForWavesPerEU: 43
; Occupancy: 16
; WaveLimiterHint : 0
; COMPUTE_PGM_RSRC2:SCRATCH_EN: 0
; COMPUTE_PGM_RSRC2:USER_SGPR: 15
; COMPUTE_PGM_RSRC2:TRAP_HANDLER: 0
; COMPUTE_PGM_RSRC2:TGID_X_EN: 1
; COMPUTE_PGM_RSRC2:TGID_Y_EN: 0
; COMPUTE_PGM_RSRC2:TGID_Z_EN: 0
; COMPUTE_PGM_RSRC2:TIDIG_COMP_CNT: 0
	.text
	.p2alignl 7, 3214868480
	.fill 96, 4, 3214868480
	.type	__hip_cuid_ada41bddfb733f03,@object ; @__hip_cuid_ada41bddfb733f03
	.section	.bss,"aw",@nobits
	.globl	__hip_cuid_ada41bddfb733f03
__hip_cuid_ada41bddfb733f03:
	.byte	0                               ; 0x0
	.size	__hip_cuid_ada41bddfb733f03, 1

	.ident	"AMD clang version 19.0.0git (https://github.com/RadeonOpenCompute/llvm-project roc-6.4.0 25133 c7fe45cf4b819c5991fe208aaa96edf142730f1d)"
	.section	".note.GNU-stack","",@progbits
	.addrsig
	.addrsig_sym __hip_cuid_ada41bddfb733f03
	.amdgpu_metadata
---
amdhsa.kernels:
  - .args:
      - .offset:         0
        .size:           8
        .value_kind:     by_value
      - .offset:         8
        .size:           8
        .value_kind:     by_value
      - .offset:         16
        .size:           8
        .value_kind:     by_value
      - .offset:         24
        .size:           8
        .value_kind:     by_value
      - .actual_access:  read_only
        .address_space:  global
        .offset:         32
        .size:           8
        .value_kind:     global_buffer
      - .actual_access:  read_only
        .address_space:  global
        .offset:         40
        .size:           8
        .value_kind:     global_buffer
      - .actual_access:  read_only
        .address_space:  global
        .offset:         48
        .size:           8
        .value_kind:     global_buffer
      - .actual_access:  read_only
        .address_space:  global
        .offset:         56
        .size:           8
        .value_kind:     global_buffer
      - .actual_access:  read_only
        .address_space:  global
        .offset:         64
        .size:           8
        .value_kind:     global_buffer
      - .actual_access:  read_only
        .address_space:  global
        .offset:         72
        .size:           8
        .value_kind:     global_buffer
      - .actual_access:  read_only
        .address_space:  global
        .offset:         80
        .size:           8
        .value_kind:     global_buffer
      - .actual_access:  read_only
        .address_space:  global
        .offset:         88
        .size:           8
        .value_kind:     global_buffer
      - .actual_access:  read_only
        .address_space:  global
        .offset:         96
        .size:           8
        .value_kind:     global_buffer
      - .actual_access:  write_only
        .address_space:  global
        .offset:         104
        .size:           8
        .value_kind:     global_buffer
      - .offset:         112
        .size:           4
        .value_kind:     hidden_block_count_x
      - .offset:         116
        .size:           4
        .value_kind:     hidden_block_count_y
      - .offset:         120
        .size:           4
        .value_kind:     hidden_block_count_z
      - .offset:         124
        .size:           2
        .value_kind:     hidden_group_size_x
      - .offset:         126
        .size:           2
        .value_kind:     hidden_group_size_y
      - .offset:         128
        .size:           2
        .value_kind:     hidden_group_size_z
      - .offset:         130
        .size:           2
        .value_kind:     hidden_remainder_x
      - .offset:         132
        .size:           2
        .value_kind:     hidden_remainder_y
      - .offset:         134
        .size:           2
        .value_kind:     hidden_remainder_z
      - .offset:         152
        .size:           8
        .value_kind:     hidden_global_offset_x
      - .offset:         160
        .size:           8
        .value_kind:     hidden_global_offset_y
      - .offset:         168
        .size:           8
        .value_kind:     hidden_global_offset_z
      - .offset:         176
        .size:           2
        .value_kind:     hidden_grid_dims
      - .offset:         232
        .size:           4
        .value_kind:     hidden_dynamic_lds_size
    .group_segment_fixed_size: 0
    .kernarg_segment_align: 8
    .kernarg_segment_size: 368
    .language:       OpenCL C
    .language_version:
      - 2
      - 0
    .max_flat_workgroup_size: 1024
    .name:           _Z11fasten_mainmmmmPK4AtomS1_PKfS3_S3_S3_S3_S3_PK8FFParamsPf
    .private_segment_fixed_size: 0
    .sgpr_count:     37
    .sgpr_spill_count: 0
    .symbol:         _Z11fasten_mainmmmmPK4AtomS1_PKfS3_S3_S3_S3_S3_PK8FFParamsPf.kd
    .uniform_work_group_size: 1
    .uses_dynamic_stack: false
    .vgpr_count:     43
    .vgpr_spill_count: 0
    .wavefront_size: 32
    .workgroup_processor_mode: 1
amdhsa.target:   amdgcn-amd-amdhsa--gfx1100
amdhsa.version:
  - 1
  - 2
...

	.end_amdgpu_metadata
